;; amdgpu-corpus repo=ROCm/rocFFT kind=compiled arch=gfx1030 opt=O3
	.text
	.amdgcn_target "amdgcn-amd-amdhsa--gfx1030"
	.amdhsa_code_object_version 6
	.protected	fft_rtc_fwd_len343_factors_7_7_7_wgs_245_tpt_49_dp_op_CI_CI_sbrc_erc_z_xy_aligned_dirReg ; -- Begin function fft_rtc_fwd_len343_factors_7_7_7_wgs_245_tpt_49_dp_op_CI_CI_sbrc_erc_z_xy_aligned_dirReg
	.globl	fft_rtc_fwd_len343_factors_7_7_7_wgs_245_tpt_49_dp_op_CI_CI_sbrc_erc_z_xy_aligned_dirReg
	.p2align	8
	.type	fft_rtc_fwd_len343_factors_7_7_7_wgs_245_tpt_49_dp_op_CI_CI_sbrc_erc_z_xy_aligned_dirReg,@function
fft_rtc_fwd_len343_factors_7_7_7_wgs_245_tpt_49_dp_op_CI_CI_sbrc_erc_z_xy_aligned_dirReg: ; @fft_rtc_fwd_len343_factors_7_7_7_wgs_245_tpt_49_dp_op_CI_CI_sbrc_erc_z_xy_aligned_dirReg
; %bb.0:
	s_load_dwordx8 s[8:15], s[4:5], 0x0
	v_mov_b32_e32 v1, 0x17f
	v_add_nc_u16 v5, v0, 0xf5
	v_mov_b32_e32 v4, 0x5f9
	v_add_nc_u16 v9, v0, 0x4c9
	;; [unrolled: 2-line block ×3, first 2 shown]
	v_mul_u32_u24_sdwa v1, v5, v1 dst_sel:DWORD dst_unused:UNUSED_PAD src0_sel:WORD_0 src1_sel:DWORD
	v_add_nc_u16 v7, v0, 0x2df
	v_mul_u32_u24_sdwa v14, v9, v4 dst_sel:DWORD dst_unused:UNUSED_PAD src0_sel:WORD_0 src1_sel:DWORD
	v_add_nc_u16 v8, v0, 0x3d4
	v_add_nc_u16 v10, v0, 0x5be
	v_lshrrev_b32_e32 v34, 17, v1
	v_mul_u32_u24_sdwa v11, v6, v3 dst_sel:DWORD dst_unused:UNUSED_PAD src0_sel:WORD_0 src1_sel:DWORD
	v_lshrrev_b32_e32 v38, 19, v14
	v_mul_u32_u24_sdwa v3, v7, v3 dst_sel:DWORD dst_unused:UNUSED_PAD src0_sel:WORD_0 src1_sel:DWORD
	v_mul_u32_u24_sdwa v13, v8, v4 dst_sel:DWORD dst_unused:UNUSED_PAD src0_sel:WORD_0 src1_sel:DWORD
	v_mul_u32_u24_sdwa v4, v10, v4 dst_sel:DWORD dst_unused:UNUSED_PAD src0_sel:WORD_0 src1_sel:DWORD
	v_lshrrev_b32_e32 v35, 18, v11
	v_mov_b32_e32 v2, 0
	s_waitcnt lgkmcnt(0)
	s_load_dwordx4 s[16:19], s[12:13], 0x8
	s_clause 0x1
	s_load_dwordx4 s[0:3], s[4:5], 0x58
	s_load_dwordx2 s[12:13], s[4:5], 0x20
	s_load_dwordx4 s[20:23], s[14:15], 0x0
	s_waitcnt lgkmcnt(0)
	s_load_dword s23, s[14:15], 0x10
	v_lshrrev_b32_e32 v36, 18, v3
	v_lshrrev_b32_e32 v39, 19, v4
	v_mul_lo_u16 v3, 0x157, v34
	v_mul_lo_u16 v4, 0x157, v35
	v_lshrrev_b32_e32 v37, 19, v13
	v_mul_lo_u16 v11, 0x157, v36
	v_mul_lo_u16 v13, 0x157, v38
	;; [unrolled: 1-line block ×3, first 2 shown]
	s_mov_b32 s7, 0
	v_lshl_add_u32 v46, v0, 4, 0
	s_mov_b32 s34, 0xb247c609
	s_mov_b32 s35, 0x3fd5d0dc
	;; [unrolled: 1-line block ×5, first 2 shown]
	s_add_i32 s4, s16, -1
	s_mul_hi_u32 s4, s4, 0xcccccccd
	s_lshr_b32 s4, s4, 2
	s_add_i32 s5, s4, 1
	s_mul_i32 s24, s5, s18
	v_cvt_f32_u32_e32 v14, s5
	v_cvt_f32_u32_e32 v12, s24
	s_clause 0x1
	s_load_dwordx4 s[16:19], s[12:13], 0x0
	s_load_dword s36, s[12:13], 0x10
	s_sub_i32 s25, 0, s24
	v_rcp_iflag_f32_e32 v14, v14
	v_rcp_iflag_f32_e32 v1, v12
	v_mul_lo_u16 v12, 0x157, v37
	v_mul_f32_e32 v1, 0x4f7ffffe, v1
	v_cvt_u32_f32_e32 v1, v1
	s_waitcnt lgkmcnt(0)
	v_readfirstlane_b32 s19, v1
	v_sub_nc_u16 v1, v5, v3
	v_sub_nc_u16 v3, v6, v4
	v_mul_f32_e32 v6, 0x4f7ffffe, v14
	v_sub_nc_u16 v4, v7, v11
	s_mul_i32 s25, s25, s19
	v_sub_nc_u16 v5, v8, v12
	s_mul_hi_u32 s25, s19, s25
	v_cvt_u32_f32_e32 v6, v6
	s_add_i32 s19, s19, s25
	v_sub_nc_u16 v7, v9, v13
	s_mul_hi_u32 s19, s6, s19
	v_sub_nc_u16 v8, v10, v15
	s_mul_i32 s25, s19, s24
	s_add_i32 s26, s19, 1
	s_sub_i32 s25, s6, s25
	v_readfirstlane_b32 s28, v6
	s_sub_i32 s27, s25, s24
	s_cmp_ge_u32 s25, s24
	v_and_b32_e32 v40, 0xffff, v1
	s_cselect_b32 s19, s26, s19
	s_cselect_b32 s25, s27, s25
	s_add_i32 s26, s19, 1
	s_cmp_ge_u32 s25, s24
	v_and_b32_e32 v41, 0xffff, v3
	s_cselect_b32 s19, s26, s19
	s_not_b32 s4, s4
	s_mul_i32 s24, s19, s24
	s_mul_i32 s4, s4, s28
	s_sub_i32 s24, s6, s24
	s_mul_hi_u32 s4, s28, s4
	v_and_b32_e32 v42, 0xffff, v4
	s_add_i32 s28, s28, s4
	v_and_b32_e32 v43, 0xffff, v5
	s_mul_hi_u32 s4, s24, s28
	s_mul_hi_u32 s27, s6, s28
	s_mul_i32 s25, s4, s5
	s_mul_i32 s27, s27, s5
	s_sub_i32 s24, s24, s25
	s_add_i32 s25, s4, 1
	s_sub_i32 s26, s24, s5
	s_cmp_ge_u32 s24, s5
	v_and_b32_e32 v44, 0xffff, v7
	s_cselect_b32 s4, s25, s4
	s_cselect_b32 s24, s26, s24
	s_add_i32 s25, s4, 1
	s_cmp_ge_u32 s24, s5
	v_and_b32_e32 v45, 0xffff, v8
	s_cselect_b32 s33, s25, s4
	s_sub_i32 s4, s6, s27
	v_mad_u64_u32 v[3:4], null, s20, v0, 0
	s_sub_i32 s6, s4, s5
	s_cmp_ge_u32 s4, s5
	v_mad_u64_u32 v[5:6], null, s20, v40, 0
	s_cselect_b32 s4, s6, s4
	v_mad_u64_u32 v[7:8], null, s20, v41, 0
	s_sub_i32 s6, s4, s5
	s_cmp_ge_u32 s4, s5
	s_mul_i32 s5, s33, s23
	s_cselect_b32 s4, s6, s4
	s_lshl_b64 s[10:11], s[10:11], 3
	s_mul_i32 s4, s4, 5
	v_mad_u64_u32 v[9:10], null, s20, v42, 0
	s_mul_i32 s6, s4, s22
	s_mul_i32 s23, s17, s4
	s_mul_hi_u32 s24, s16, s4
	s_add_i32 s6, s6, s5
	s_add_i32 s5, s24, s23
	s_add_u32 s14, s14, s10
	s_addc_u32 s15, s15, s11
	v_mad_u64_u32 v[14:15], null, s20, v43, 0
	s_load_dwordx2 s[14:15], s[14:15], 0x0
	v_mad_u64_u32 v[16:17], null, s20, v44, 0
	v_mad_u64_u32 v[18:19], null, s20, v45, 0
	v_mul_lo_u32 v1, s22, v34
	v_mov_b32_e32 v13, v15
	s_mov_b32 s24, 0xe976ee23
	s_mov_b32 s25, 0xbfe11646
	v_mov_b32_e32 v15, v17
	s_mov_b32 s26, 0x37c3f68c
	v_mov_b32_e32 v17, v19
	v_mad_u64_u32 v[19:20], null, s21, v0, v[4:5]
	v_lshlrev_b64 v[11:12], 4, v[1:2]
	v_mad_u64_u32 v[20:21], null, s21, v40, v[6:7]
	v_mad_u64_u32 v[21:22], null, s21, v41, v[8:9]
	v_mul_lo_u32 v1, s22, v35
	s_waitcnt lgkmcnt(0)
	s_mul_i32 s15, s15, s19
	s_mul_hi_u32 s20, s14, s19
	v_mov_b32_e32 v4, v19
	s_add_i32 s15, s20, s15
	s_add_u32 s10, s12, s10
	s_addc_u32 s11, s13, s11
	v_mad_u64_u32 v[22:23], null, s21, v42, v[10:11]
	s_load_dwordx2 s[10:11], s[10:11], 0x0
	s_mul_i32 s14, s14, s19
	v_mov_b32_e32 v6, v20
	s_lshl_b64 s[12:13], s[14:15], 4
	v_lshlrev_b64 v[3:4], 4, v[3:4]
	v_mov_b32_e32 v8, v21
	v_mov_b32_e32 v10, v22
	v_lshlrev_b64 v[5:6], 4, v[5:6]
	v_mad_u64_u32 v[23:24], null, s21, v43, v[13:14]
	v_lshlrev_b64 v[7:8], 4, v[7:8]
	v_lshlrev_b64 v[24:25], 4, v[1:2]
	v_mul_lo_u32 v1, s22, v36
	v_lshlrev_b64 v[9:10], 4, v[9:10]
	v_mad_u64_u32 v[26:27], null, s21, v44, v[15:16]
	v_mov_b32_e32 v15, v23
	s_mov_b32 s14, 0x37e14327
	s_mov_b32 s15, 0x3fe948f6
	s_mov_b32 s27, 0x3fdc38aa
	s_waitcnt lgkmcnt(0)
	s_mul_i32 s11, s11, s19
	s_mul_hi_u32 s20, s10, s19
	v_lshlrev_b64 v[19:20], 4, v[1:2]
	s_add_i32 s11, s20, s11
	s_add_u32 s12, s0, s12
	s_addc_u32 s13, s1, s13
	s_lshl_b64 s[0:1], s[6:7], 4
	v_mul_lo_u32 v1, s22, v37
	s_add_u32 s0, s12, s0
	s_addc_u32 s1, s13, s1
	v_add_co_u32 v3, vcc_lo, s0, v3
	v_add_co_ci_u32_e32 v4, vcc_lo, s1, v4, vcc_lo
	v_add_co_u32 v5, vcc_lo, s0, v5
	v_add_co_ci_u32_e32 v6, vcc_lo, s1, v6, vcc_lo
	;; [unrolled: 2-line block ×6, first 2 shown]
	v_lshlrev_b64 v[14:15], 4, v[14:15]
	s_clause 0x1
	global_load_dwordx4 v[6:9], v[3:4], off
	global_load_dwordx4 v[10:13], v[10:11], off
	v_add_co_u32 v3, vcc_lo, v23, v19
	v_lshlrev_b64 v[23:24], 4, v[1:2]
	v_mul_lo_u32 v1, s22, v38
	v_add_co_ci_u32_e32 v4, vcc_lo, v27, v20, vcc_lo
	v_mad_u64_u32 v[19:20], null, s21, v45, v[17:18]
	v_mov_b32_e32 v17, v26
	v_add_co_u32 v5, vcc_lo, s0, v14
	v_add_co_ci_u32_e32 v20, vcc_lo, s1, v15, vcc_lo
	v_lshlrev_b64 v[14:15], 4, v[16:17]
	v_lshlrev_b64 v[16:17], 4, v[1:2]
	v_mul_lo_u32 v1, s22, v39
	v_add_co_u32 v23, vcc_lo, v5, v23
	v_lshlrev_b64 v[18:19], 4, v[18:19]
	v_add_co_ci_u32_e32 v24, vcc_lo, v20, v24, vcc_lo
	v_add_co_u32 v5, vcc_lo, s0, v14
	v_add_co_ci_u32_e32 v20, vcc_lo, s1, v15, vcc_lo
	v_add_co_u32 v18, vcc_lo, s0, v18
	v_lshlrev_b64 v[14:15], 4, v[1:2]
	v_add_co_ci_u32_e32 v19, vcc_lo, s1, v19, vcc_lo
	v_add_co_u32 v26, vcc_lo, v5, v16
	v_add_co_ci_u32_e32 v27, vcc_lo, v20, v17, vcc_lo
	v_add_co_u32 v30, vcc_lo, v18, v14
	v_add_co_ci_u32_e32 v31, vcc_lo, v19, v15, vcc_lo
	s_clause 0x4
	global_load_dwordx4 v[14:17], v[21:22], off
	global_load_dwordx4 v[18:21], v[3:4], off
	;; [unrolled: 1-line block ×5, first 2 shown]
	v_mul_u32_u24_e32 v1, 0x53a, v0
	v_mul_u32_u24_e32 v5, 0x1580, v34
	;; [unrolled: 1-line block ×5, first 2 shown]
	v_lshrrev_b32_e32 v1, 16, v1
	v_mul_u32_u24_e32 v37, 0x1580, v38
	v_mul_u32_u24_e32 v38, 0x1580, v39
	s_mov_b32 s12, 0x429ad128
	s_mov_b32 s0, 0x36b3c0b5
	v_add_nc_u32_e32 v3, s4, v1
	v_mul_lo_u16 v1, v1, 49
	s_mov_b32 s13, 0x3febfeb5
	s_mov_b32 s1, 0x3fac98ee
	;; [unrolled: 1-line block ×3, first 2 shown]
	v_mul_hi_u32 v4, 0xcccccccd, v3
	v_sub_nc_u16 v54, v0, v1
	s_mov_b32 s21, 0xbff2aaaa
	s_mov_b32 s22, 0x5476071b
	;; [unrolled: 1-line block ×4, first 2 shown]
	v_and_b32_e32 v1, 0xffff, v54
	v_and_b32_e32 v55, 0xff, v54
	v_lshrrev_b32_e32 v4, 2, v4
	s_mul_i32 s4, s16, s4
	s_mul_i32 s6, s33, s18
	v_lshlrev_b32_e32 v39, 4, v1
	v_mul_lo_u16 v55, v55, 37
	v_lshl_add_u32 v4, v4, 2, v4
	s_mul_i32 s10, s10, s19
	v_cmp_gt_u32_e32 vcc_lo, 5, v0
	v_lshrrev_b16 v55, 8, v55
	v_sub_nc_u32_e32 v3, v3, v4
	v_lshlrev_b32_e32 v4, 4, v40
	v_lshlrev_b32_e32 v40, 4, v41
	;; [unrolled: 1-line block ×4, first 2 shown]
	v_mul_u32_u24_e32 v3, 0x158, v3
	v_add3_u32 v4, 0, v5, v4
	v_lshlrev_b32_e32 v43, 4, v44
	v_lshlrev_b32_e32 v44, 4, v45
	v_add3_u32 v34, 0, v34, v40
	v_lshlrev_b32_e32 v5, 4, v3
	v_add3_u32 v35, 0, v35, v41
	v_add3_u32 v36, 0, v36, v42
	;; [unrolled: 1-line block ×5, first 2 shown]
	s_waitcnt vmcnt(6)
	ds_write_b128 v46, v[6:9]
	s_waitcnt vmcnt(5)
	ds_write_b128 v4, v[10:13]
	;; [unrolled: 2-line block ×7, first 2 shown]
	s_waitcnt lgkmcnt(0)
	s_barrier
	buffer_gl0_inv
	ds_read_b128 v[6:9], v3 offset:784
	ds_read_b128 v[10:13], v3 offset:4704
	;; [unrolled: 1-line block ×6, first 2 shown]
	v_add3_u32 v4, 0, v5, v39
	s_waitcnt lgkmcnt(4)
	v_add_f64 v[30:31], v[6:7], v[10:11]
	v_add_f64 v[32:33], v[8:9], v[12:13]
	s_waitcnt lgkmcnt(2)
	v_add_f64 v[34:35], v[18:19], v[14:15]
	v_add_f64 v[36:37], v[20:21], v[16:17]
	v_add_f64 v[14:15], v[18:19], -v[14:15]
	v_add_f64 v[16:17], v[20:21], -v[16:17]
	s_waitcnt lgkmcnt(0)
	v_add_f64 v[18:19], v[26:27], v[22:23]
	v_add_f64 v[20:21], v[28:29], v[24:25]
	v_add_f64 v[22:23], v[22:23], -v[26:27]
	v_add_f64 v[24:25], v[24:25], -v[28:29]
	;; [unrolled: 1-line block ×4, first 2 shown]
	ds_read_b128 v[6:9], v4
	s_waitcnt lgkmcnt(0)
	s_barrier
	buffer_gl0_inv
	v_add_f64 v[26:27], v[34:35], v[30:31]
	v_add_f64 v[28:29], v[36:37], v[32:33]
	v_add_f64 v[38:39], v[30:31], -v[18:19]
	v_add_f64 v[40:41], v[32:33], -v[20:21]
	;; [unrolled: 1-line block ×6, first 2 shown]
	v_add_f64 v[14:15], v[22:23], v[14:15]
	v_add_f64 v[16:17], v[24:25], v[16:17]
	v_add_f64 v[22:23], v[10:11], -v[22:23]
	v_add_f64 v[24:25], v[12:13], -v[24:25]
	;; [unrolled: 1-line block ×4, first 2 shown]
	v_add_f64 v[26:27], v[18:19], v[26:27]
	v_add_f64 v[28:29], v[20:21], v[28:29]
	v_add_f64 v[18:19], v[18:19], -v[34:35]
	v_add_f64 v[20:21], v[20:21], -v[36:37]
	v_mul_f64 v[38:39], v[38:39], s[14:15]
	v_mul_f64 v[40:41], v[40:41], s[14:15]
	;; [unrolled: 1-line block ×6, first 2 shown]
	v_add_f64 v[10:11], v[14:15], v[10:11]
	v_add_f64 v[12:13], v[16:17], v[12:13]
	;; [unrolled: 1-line block ×4, first 2 shown]
	v_mul_f64 v[34:35], v[18:19], s[0:1]
	v_mul_f64 v[36:37], v[20:21], s[0:1]
	v_fma_f64 v[14:15], v[18:19], s[0:1], v[38:39]
	v_fma_f64 v[16:17], v[20:21], s[0:1], v[40:41]
	;; [unrolled: 1-line block ×4, first 2 shown]
	v_fma_f64 v[22:23], v[22:23], s[30:31], -v[50:51]
	v_fma_f64 v[24:25], v[24:25], s[30:31], -v[52:53]
	;; [unrolled: 1-line block ×6, first 2 shown]
	v_fma_f64 v[26:27], v[26:27], s[20:21], v[6:7]
	v_fma_f64 v[28:29], v[28:29], s[20:21], v[8:9]
	v_fma_f64 v[30:31], v[30:31], s[22:23], -v[34:35]
	v_fma_f64 v[32:33], v[32:33], s[22:23], -v[36:37]
	v_sub_nc_u16 v34, v54, v55
	v_fma_f64 v[36:37], v[12:13], s[26:27], v[20:21]
	v_fma_f64 v[46:47], v[10:11], s[26:27], v[22:23]
	v_lshrrev_b16 v56, 1, v34
	v_fma_f64 v[34:35], v[10:11], s[26:27], v[18:19]
	v_fma_f64 v[48:49], v[12:13], s[26:27], v[24:25]
	;; [unrolled: 1-line block ×4, first 2 shown]
	v_and_b32_e32 v10, 0x7f, v56
	v_add_nc_u16 v10, v10, v55
	v_add_f64 v[50:51], v[14:15], v[26:27]
	v_add_f64 v[52:53], v[16:17], v[28:29]
	;; [unrolled: 1-line block ×6, first 2 shown]
	v_lshrrev_b16 v55, 2, v10
	v_mul_lo_u16 v56, v55, 7
	v_sub_nc_u16 v54, v54, v56
	v_add_f64 v[10:11], v[50:51], v[36:37]
	v_add_f64 v[12:13], v[52:53], -v[34:35]
	v_add_f64 v[14:15], v[38:39], v[48:49]
	v_add_f64 v[16:17], v[40:41], -v[46:47]
	v_add_f64 v[18:19], v[22:23], -v[44:45]
	v_add_f64 v[20:21], v[42:43], v[24:25]
	v_add_f64 v[22:23], v[22:23], v[44:45]
	v_add_f64 v[24:25], v[24:25], -v[42:43]
	v_add_f64 v[26:27], v[38:39], -v[48:49]
	v_add_f64 v[28:29], v[46:47], v[40:41]
	v_add_f64 v[30:31], v[50:51], -v[36:37]
	v_add_f64 v[32:33], v[34:35], v[52:53]
	v_mov_b32_e32 v34, 6
	v_mad_u32_u24 v35, 0x60, v1, v3
	ds_write_b128 v35, v[6:9]
	ds_write_b128 v35, v[10:13] offset:16
	ds_write_b128 v35, v[14:17] offset:32
	;; [unrolled: 1-line block ×6, first 2 shown]
	v_mul_u32_u24_sdwa v34, v54, v34 dst_sel:DWORD dst_unused:UNUSED_PAD src0_sel:BYTE_0 src1_sel:DWORD
	s_waitcnt lgkmcnt(0)
	s_barrier
	buffer_gl0_inv
	v_mul_u32_u24_e32 v1, 6, v1
	v_lshlrev_b32_e32 v34, 4, v34
	s_clause 0x5
	global_load_dwordx4 v[6:9], v34, s[8:9]
	global_load_dwordx4 v[10:13], v34, s[8:9] offset:16
	global_load_dwordx4 v[14:17], v34, s[8:9] offset:80
	;; [unrolled: 1-line block ×5, first 2 shown]
	ds_read_b128 v[30:33], v3 offset:784
	ds_read_b128 v[34:37], v3 offset:1568
	;; [unrolled: 1-line block ×4, first 2 shown]
	v_lshlrev_b32_e32 v1, 4, v1
	s_waitcnt vmcnt(5) lgkmcnt(3)
	v_mul_f64 v[46:47], v[32:33], v[8:9]
	v_mul_f64 v[8:9], v[30:31], v[8:9]
	s_waitcnt vmcnt(4) lgkmcnt(2)
	v_mul_f64 v[48:49], v[36:37], v[12:13]
	v_mul_f64 v[12:13], v[34:35], v[12:13]
	s_waitcnt vmcnt(1) lgkmcnt(1)
	v_mul_f64 v[50:51], v[40:41], v[24:25]
	v_fma_f64 v[30:31], v[30:31], v[6:7], -v[46:47]
	v_fma_f64 v[32:33], v[32:33], v[6:7], v[8:9]
	ds_read_b128 v[6:9], v3 offset:3920
	s_waitcnt lgkmcnt(1)
	v_mul_f64 v[46:47], v[44:45], v[16:17]
	v_mul_f64 v[16:17], v[42:43], v[16:17]
	v_fma_f64 v[34:35], v[34:35], v[10:11], -v[48:49]
	v_fma_f64 v[36:37], v[36:37], v[10:11], v[12:13]
	ds_read_b128 v[10:13], v3 offset:3136
	s_waitcnt lgkmcnt(1)
	v_mul_f64 v[48:49], v[8:9], v[20:21]
	v_mul_f64 v[20:21], v[6:7], v[20:21]
	v_fma_f64 v[42:43], v[42:43], v[14:15], -v[46:47]
	v_fma_f64 v[14:15], v[44:45], v[14:15], v[16:17]
	v_mul_f64 v[16:17], v[38:39], v[24:25]
	s_waitcnt vmcnt(0) lgkmcnt(0)
	v_mul_f64 v[24:25], v[12:13], v[28:29]
	v_mul_f64 v[28:29], v[10:11], v[28:29]
	v_fma_f64 v[6:7], v[6:7], v[18:19], -v[48:49]
	v_fma_f64 v[8:9], v[8:9], v[18:19], v[20:21]
	v_fma_f64 v[18:19], v[38:39], v[22:23], -v[50:51]
	v_add_f64 v[20:21], v[30:31], v[42:43]
	v_fma_f64 v[16:17], v[40:41], v[22:23], v[16:17]
	v_fma_f64 v[10:11], v[10:11], v[26:27], -v[24:25]
	v_fma_f64 v[12:13], v[12:13], v[26:27], v[28:29]
	v_add_f64 v[22:23], v[32:33], v[14:15]
	v_add_f64 v[14:15], v[32:33], -v[14:15]
	v_add_f64 v[24:25], v[34:35], v[6:7]
	v_add_f64 v[26:27], v[36:37], v[8:9]
	v_add_f64 v[28:29], v[34:35], -v[6:7]
	v_add_f64 v[34:35], v[36:37], -v[8:9]
	ds_read_b128 v[6:9], v4
	s_waitcnt lgkmcnt(0)
	v_add_f64 v[36:37], v[18:19], v[10:11]
	v_add_f64 v[38:39], v[16:17], v[12:13]
	v_add_f64 v[10:11], v[10:11], -v[18:19]
	v_add_f64 v[12:13], v[12:13], -v[16:17]
	;; [unrolled: 1-line block ×3, first 2 shown]
	s_barrier
	buffer_gl0_inv
	v_add_f64 v[18:19], v[24:25], v[20:21]
	v_add_f64 v[30:31], v[26:27], v[22:23]
	v_add_f64 v[48:49], v[34:35], -v[14:15]
	v_add_f64 v[32:33], v[20:21], -v[36:37]
	;; [unrolled: 1-line block ×6, first 2 shown]
	v_add_f64 v[28:29], v[10:11], v[28:29]
	v_add_f64 v[34:35], v[12:13], v[34:35]
	v_add_f64 v[10:11], v[16:17], -v[10:11]
	v_add_f64 v[12:13], v[14:15], -v[12:13]
	;; [unrolled: 1-line block ×4, first 2 shown]
	v_add_f64 v[18:19], v[36:37], v[18:19]
	v_add_f64 v[30:31], v[38:39], v[30:31]
	v_add_f64 v[36:37], v[36:37], -v[24:25]
	v_add_f64 v[38:39], v[38:39], -v[26:27]
	v_mul_f64 v[52:53], v[48:49], s[12:13]
	v_mul_f64 v[32:33], v[32:33], s[14:15]
	;; [unrolled: 1-line block ×6, first 2 shown]
	v_add_f64 v[16:17], v[28:29], v[16:17]
	v_add_f64 v[14:15], v[34:35], v[14:15]
	;; [unrolled: 1-line block ×4, first 2 shown]
	v_mul_f64 v[24:25], v[36:37], s[0:1]
	v_mul_f64 v[26:27], v[38:39], s[0:1]
	v_fma_f64 v[28:29], v[36:37], s[0:1], v[32:33]
	v_fma_f64 v[34:35], v[38:39], s[0:1], v[40:41]
	v_fma_f64 v[36:37], v[10:11], s[34:35], v[42:43]
	v_fma_f64 v[38:39], v[12:13], s[34:35], v[44:45]
	v_fma_f64 v[42:43], v[46:47], s[12:13], -v[42:43]
	v_fma_f64 v[44:45], v[48:49], s[12:13], -v[44:45]
	;; [unrolled: 1-line block ×6, first 2 shown]
	v_and_b32_e32 v48, 0xffff, v55
	v_mov_b32_e32 v55, 4
	v_fma_f64 v[18:19], v[18:19], s[20:21], v[6:7]
	v_fma_f64 v[30:31], v[30:31], s[20:21], v[8:9]
	v_fma_f64 v[20:21], v[20:21], s[22:23], -v[24:25]
	v_fma_f64 v[22:23], v[22:23], s[22:23], -v[26:27]
	v_fma_f64 v[36:37], v[16:17], s[26:27], v[36:37]
	v_fma_f64 v[38:39], v[14:15], s[26:27], v[38:39]
	;; [unrolled: 1-line block ×6, first 2 shown]
	v_add_f64 v[46:47], v[28:29], v[18:19]
	v_add_f64 v[34:35], v[34:35], v[30:31]
	;; [unrolled: 1-line block ×7, first 2 shown]
	v_add_f64 v[12:13], v[34:35], -v[36:37]
	v_add_f64 v[14:15], v[44:45], v[28:29]
	v_add_f64 v[16:17], v[32:33], -v[42:43]
	v_add_f64 v[18:19], v[40:41], -v[26:27]
	v_add_f64 v[20:21], v[24:25], v[30:31]
	v_add_f64 v[22:23], v[26:27], v[40:41]
	v_add_f64 v[24:25], v[30:31], -v[24:25]
	v_add_f64 v[26:27], v[28:29], -v[44:45]
	v_add_f64 v[28:29], v[42:43], v[32:33]
	v_add_f64 v[30:31], v[46:47], -v[38:39]
	v_add_f64 v[32:33], v[36:37], v[34:35]
	v_mad_u32_u24 v34, 0x310, v48, 0
	v_lshlrev_b32_sdwa v35, v55, v54 dst_sel:DWORD dst_unused:UNUSED_PAD src0_sel:DWORD src1_sel:BYTE_0
	v_add3_u32 v5, v34, v35, v5
	ds_write_b128 v5, v[6:9]
	ds_write_b128 v5, v[10:13] offset:112
	ds_write_b128 v5, v[14:17] offset:224
	;; [unrolled: 1-line block ×6, first 2 shown]
	s_waitcnt lgkmcnt(0)
	s_barrier
	buffer_gl0_inv
	s_clause 0x5
	global_load_dwordx4 v[5:8], v1, s[8:9] offset:672
	global_load_dwordx4 v[9:12], v1, s[8:9] offset:688
	;; [unrolled: 1-line block ×6, first 2 shown]
	ds_read_b128 v[29:32], v3 offset:784
	ds_read_b128 v[33:36], v3 offset:1568
	;; [unrolled: 1-line block ×5, first 2 shown]
	v_mul_u32_u24_e32 v1, 0x3334, v0
	v_lshrrev_b32_e32 v62, 16, v1
	v_mul_lo_u16 v1, v62, 5
	s_waitcnt vmcnt(5) lgkmcnt(4)
	v_mul_f64 v[49:50], v[31:32], v[7:8]
	s_waitcnt vmcnt(4) lgkmcnt(3)
	v_mul_f64 v[51:52], v[35:36], v[11:12]
	v_mul_f64 v[11:12], v[33:34], v[11:12]
	;; [unrolled: 1-line block ×3, first 2 shown]
	s_waitcnt vmcnt(2) lgkmcnt(0)
	v_mul_f64 v[53:54], v[47:48], v[19:20]
	v_fma_f64 v[29:30], v[29:30], v[5:6], -v[49:50]
	v_mul_f64 v[49:50], v[39:40], v[15:16]
	v_mul_f64 v[15:16], v[37:38], v[15:16]
	v_fma_f64 v[33:34], v[33:34], v[9:10], -v[51:52]
	v_fma_f64 v[9:10], v[35:36], v[9:10], v[11:12]
	v_mul_f64 v[11:12], v[45:46], v[19:20]
	v_fma_f64 v[31:32], v[31:32], v[5:6], v[7:8]
	ds_read_b128 v[5:8], v3 offset:3136
	s_waitcnt vmcnt(1)
	v_mul_f64 v[19:20], v[43:44], v[23:24]
	v_mul_f64 v[23:24], v[41:42], v[23:24]
	v_fma_f64 v[37:38], v[37:38], v[13:14], -v[49:50]
	v_fma_f64 v[13:14], v[39:40], v[13:14], v[15:16]
	s_waitcnt vmcnt(0) lgkmcnt(0)
	v_mul_f64 v[35:36], v[7:8], v[27:28]
	v_mul_f64 v[15:16], v[5:6], v[27:28]
	v_fma_f64 v[27:28], v[45:46], v[17:18], -v[53:54]
	v_fma_f64 v[11:12], v[47:48], v[17:18], v[11:12]
	v_fma_f64 v[17:18], v[41:42], v[21:22], -v[19:20]
	v_fma_f64 v[19:20], v[43:44], v[21:22], v[23:24]
	v_add_f64 v[21:22], v[31:32], v[13:14]
	v_add_f64 v[13:14], v[31:32], -v[13:14]
	v_fma_f64 v[5:6], v[5:6], v[25:26], -v[35:36]
	v_fma_f64 v[7:8], v[7:8], v[25:26], v[15:16]
	v_add_f64 v[15:16], v[29:30], v[37:38]
	v_add_f64 v[23:24], v[33:34], v[27:28]
	;; [unrolled: 1-line block ×3, first 2 shown]
	v_add_f64 v[27:28], v[33:34], -v[27:28]
	v_add_f64 v[9:10], v[9:10], -v[11:12]
	;; [unrolled: 1-line block ×3, first 2 shown]
	v_add_f64 v[33:34], v[17:18], v[5:6]
	v_add_f64 v[17:18], v[5:6], -v[17:18]
	v_add_f64 v[11:12], v[7:8], -v[19:20]
	v_add_f64 v[19:20], v[19:20], v[7:8]
	v_add_f64 v[35:36], v[23:24], v[15:16]
	;; [unrolled: 1-line block ×3, first 2 shown]
	v_sub_nc_u16 v8, v0, v1
	v_add_f64 v[51:52], v[9:10], -v[13:14]
	ds_read_b128 v[4:7], v4
	v_mul_lo_u32 v1, s36, v62
	s_mul_i32 s36, s36, 49
	v_and_b32_e32 v53, 0xffff, v8
	v_mul_lo_u16 v54, 0x158, v8
	s_waitcnt lgkmcnt(0)
	s_barrier
	buffer_gl0_inv
	v_mad_u64_u32 v[31:32], null, s16, v53, 0
	v_lshlrev_b32_sdwa v63, v55, v54 dst_sel:DWORD dst_unused:UNUSED_PAD src0_sel:DWORD src1_sel:WORD_0
	v_lshlrev_b64 v[45:46], 4, v[1:2]
	v_add_nc_u32_e32 v1, s36, v1
	v_add_f64 v[37:38], v[15:16], -v[33:34]
	v_add_f64 v[41:42], v[17:18], -v[27:28]
	;; [unrolled: 1-line block ×5, first 2 shown]
	v_add_f64 v[33:34], v[33:34], v[35:36]
	v_add_f64 v[35:36], v[19:20], v[39:40]
	v_add_f64 v[19:20], v[19:20], -v[25:26]
	v_add_f64 v[39:40], v[27:28], -v[29:30]
	v_mov_b32_e32 v8, v32
	v_add_f64 v[27:28], v[17:18], v[27:28]
	v_add_f64 v[56:57], v[11:12], v[9:10]
	v_add_f64 v[15:16], v[23:24], -v[15:16]
	v_add_f64 v[21:22], v[25:26], -v[21:22]
	v_mad_u64_u32 v[53:54], null, s17, v53, v[8:9]
	v_add_f64 v[17:18], v[29:30], -v[17:18]
	v_mul_f64 v[58:59], v[51:52], s[12:13]
	v_lshlrev_b64 v[54:55], 4, v[1:2]
	v_add_nc_u32_e32 v1, s36, v1
	v_mul_f64 v[23:24], v[37:38], s[14:15]
	v_mul_f64 v[25:26], v[41:42], s[24:25]
	;; [unrolled: 1-line block ×3, first 2 shown]
	v_add_f64 v[41:42], v[13:14], -v[11:12]
	v_mul_f64 v[43:44], v[47:48], s[14:15]
	v_add_f64 v[8:9], v[4:5], v[33:34]
	v_add_f64 v[10:11], v[6:7], v[35:36]
	v_mul_f64 v[47:48], v[49:50], s[0:1]
	v_mul_f64 v[4:5], v[19:20], s[0:1]
	;; [unrolled: 1-line block ×3, first 2 shown]
	v_add_f64 v[27:28], v[27:28], v[29:30]
	v_add_f64 v[12:13], v[56:57], v[13:14]
	v_mov_b32_e32 v32, v53
	v_lshlrev_b32_e32 v53, 4, v62
	v_lshlrev_b64 v[60:61], 4, v[1:2]
	v_add_nc_u32_e32 v1, s36, v1
	v_add3_u32 v64, 0, v63, v53
	v_add3_u32 v0, 0, v53, v63
	v_lshlrev_b64 v[56:57], 4, v[1:2]
	v_add_nc_u32_e32 v1, s36, v1
	v_fma_f64 v[29:30], v[49:50], s[0:1], v[23:24]
	v_fma_f64 v[39:40], v[39:40], s[12:13], -v[25:26]
	v_fma_f64 v[25:26], v[17:18], s[34:35], v[25:26]
	v_fma_f64 v[49:50], v[51:52], s[12:13], -v[37:38]
	v_fma_f64 v[37:38], v[41:42], s[34:35], v[37:38]
	v_fma_f64 v[19:20], v[19:20], s[0:1], v[43:44]
	;; [unrolled: 1-line block ×4, first 2 shown]
	v_fma_f64 v[47:48], v[15:16], s[22:23], -v[47:48]
	v_fma_f64 v[4:5], v[21:22], s[22:23], -v[4:5]
	;; [unrolled: 1-line block ×6, first 2 shown]
	v_lshlrev_b64 v[23:24], 4, v[31:32]
	s_lshl_b64 s[0:1], s[4:5], 4
	v_lshlrev_b64 v[51:52], 4, v[1:2]
	s_add_u32 s2, s2, s0
	s_addc_u32 s3, s3, s1
	s_lshl_b64 s[0:1], s[6:7], 4
	v_add_nc_u32_e32 v1, s36, v1
	s_add_u32 s2, s2, s0
	s_addc_u32 s3, s3, s1
	s_lshl_b64 s[0:1], s[10:11], 4
	v_fma_f64 v[43:44], v[27:28], s[26:27], v[25:26]
	v_fma_f64 v[25:26], v[27:28], s[26:27], v[39:40]
	v_fma_f64 v[37:38], v[12:13], s[26:27], v[37:38]
	v_fma_f64 v[31:32], v[12:13], s[26:27], v[49:50]
	v_add_f64 v[39:40], v[29:30], v[33:34]
	v_add_f64 v[49:50], v[19:20], v[35:36]
	;; [unrolled: 1-line block ×4, first 2 shown]
	v_fma_f64 v[6:7], v[27:28], s[26:27], v[6:7]
	v_fma_f64 v[58:59], v[12:13], s[26:27], v[17:18]
	v_add_f64 v[33:34], v[14:15], v[33:34]
	v_add_f64 v[35:36], v[21:22], v[35:36]
	s_add_u32 s0, s2, s0
	s_addc_u32 s1, s3, s1
	v_add_co_u32 v4, s0, s0, v23
	v_add_co_ci_u32_e64 v5, s0, s1, v24, s0
	v_lshlrev_b64 v[41:42], 4, v[1:2]
	v_add_nc_u32_e32 v1, s36, v1
	v_lshlrev_b64 v[62:63], 4, v[1:2]
	v_add_f64 v[12:13], v[37:38], v[39:40]
	v_add_f64 v[14:15], v[49:50], -v[43:44]
	v_add_f64 v[16:17], v[29:30], -v[31:32]
	v_add_f64 v[18:19], v[25:26], v[47:48]
	v_add_f64 v[22:23], v[47:48], -v[25:26]
	v_add_f64 v[20:21], v[31:32], v[29:30]
	v_add_f64 v[24:25], v[58:59], v[33:34]
	v_add_f64 v[26:27], v[35:36], -v[6:7]
	v_add_f64 v[28:29], v[33:34], -v[58:59]
	v_add_f64 v[30:31], v[6:7], v[35:36]
	v_add_f64 v[32:33], v[39:40], -v[37:38]
	v_add_f64 v[34:35], v[43:44], v[49:50]
	v_add_co_u32 v36, s0, v4, v45
	ds_write_b128 v3, v[8:11]
	ds_write_b128 v3, v[12:15] offset:784
	ds_write_b128 v3, v[24:27] offset:1568
	;; [unrolled: 1-line block ×6, first 2 shown]
	s_waitcnt lgkmcnt(0)
	s_barrier
	buffer_gl0_inv
	ds_read_b128 v[6:9], v64
	ds_read_b128 v[10:13], v0 offset:784
	ds_read_b128 v[14:17], v0 offset:1568
	;; [unrolled: 1-line block ×6, first 2 shown]
	v_add_co_ci_u32_e64 v37, s0, v5, v46, s0
	v_add_co_u32 v38, s0, v4, v54
	v_add_co_ci_u32_e64 v39, s0, v5, v55, s0
	v_add_co_u32 v43, s0, v4, v60
	;; [unrolled: 2-line block ×6, first 2 shown]
	v_add_co_ci_u32_e64 v48, s0, v5, v63, s0
	s_waitcnt lgkmcnt(6)
	global_store_dwordx4 v[36:37], v[6:9], off
	s_waitcnt lgkmcnt(5)
	global_store_dwordx4 v[38:39], v[10:13], off
	s_waitcnt lgkmcnt(4)
	global_store_dwordx4 v[43:44], v[14:17], off
	s_waitcnt lgkmcnt(3)
	global_store_dwordx4 v[34:35], v[18:21], off
	s_waitcnt lgkmcnt(2)
	global_store_dwordx4 v[45:46], v[22:25], off
	s_waitcnt lgkmcnt(1)
	global_store_dwordx4 v[40:41], v[26:29], off
	s_waitcnt lgkmcnt(0)
	global_store_dwordx4 v[47:48], v[30:33], off
	s_and_saveexec_b32 s0, vcc_lo
	s_cbranch_execz .LBB0_2
; %bb.1:
	ds_read_b128 v[6:9], v0 offset:5488
	v_add_nc_u32_e32 v1, s36, v1
	v_lshlrev_b64 v[0:1], 4, v[1:2]
	v_add_co_u32 v0, vcc_lo, v4, v0
	v_add_co_ci_u32_e32 v1, vcc_lo, v5, v1, vcc_lo
	s_waitcnt lgkmcnt(0)
	global_store_dwordx4 v[0:1], v[6:9], off
.LBB0_2:
	s_endpgm
	.section	.rodata,"a",@progbits
	.p2align	6, 0x0
	.amdhsa_kernel fft_rtc_fwd_len343_factors_7_7_7_wgs_245_tpt_49_dp_op_CI_CI_sbrc_erc_z_xy_aligned_dirReg
		.amdhsa_group_segment_fixed_size 0
		.amdhsa_private_segment_fixed_size 0
		.amdhsa_kernarg_size 104
		.amdhsa_user_sgpr_count 6
		.amdhsa_user_sgpr_private_segment_buffer 1
		.amdhsa_user_sgpr_dispatch_ptr 0
		.amdhsa_user_sgpr_queue_ptr 0
		.amdhsa_user_sgpr_kernarg_segment_ptr 1
		.amdhsa_user_sgpr_dispatch_id 0
		.amdhsa_user_sgpr_flat_scratch_init 0
		.amdhsa_user_sgpr_private_segment_size 0
		.amdhsa_wavefront_size32 1
		.amdhsa_uses_dynamic_stack 0
		.amdhsa_system_sgpr_private_segment_wavefront_offset 0
		.amdhsa_system_sgpr_workgroup_id_x 1
		.amdhsa_system_sgpr_workgroup_id_y 0
		.amdhsa_system_sgpr_workgroup_id_z 0
		.amdhsa_system_sgpr_workgroup_info 0
		.amdhsa_system_vgpr_workitem_id 0
		.amdhsa_next_free_vgpr 65
		.amdhsa_next_free_sgpr 37
		.amdhsa_reserve_vcc 1
		.amdhsa_reserve_flat_scratch 0
		.amdhsa_float_round_mode_32 0
		.amdhsa_float_round_mode_16_64 0
		.amdhsa_float_denorm_mode_32 3
		.amdhsa_float_denorm_mode_16_64 3
		.amdhsa_dx10_clamp 1
		.amdhsa_ieee_mode 1
		.amdhsa_fp16_overflow 0
		.amdhsa_workgroup_processor_mode 1
		.amdhsa_memory_ordered 1
		.amdhsa_forward_progress 0
		.amdhsa_shared_vgpr_count 0
		.amdhsa_exception_fp_ieee_invalid_op 0
		.amdhsa_exception_fp_denorm_src 0
		.amdhsa_exception_fp_ieee_div_zero 0
		.amdhsa_exception_fp_ieee_overflow 0
		.amdhsa_exception_fp_ieee_underflow 0
		.amdhsa_exception_fp_ieee_inexact 0
		.amdhsa_exception_int_div_zero 0
	.end_amdhsa_kernel
	.text
.Lfunc_end0:
	.size	fft_rtc_fwd_len343_factors_7_7_7_wgs_245_tpt_49_dp_op_CI_CI_sbrc_erc_z_xy_aligned_dirReg, .Lfunc_end0-fft_rtc_fwd_len343_factors_7_7_7_wgs_245_tpt_49_dp_op_CI_CI_sbrc_erc_z_xy_aligned_dirReg
                                        ; -- End function
	.section	.AMDGPU.csdata,"",@progbits
; Kernel info:
; codeLenInByte = 5416
; NumSgprs: 39
; NumVgprs: 65
; ScratchSize: 0
; MemoryBound: 0
; FloatMode: 240
; IeeeMode: 1
; LDSByteSize: 0 bytes/workgroup (compile time only)
; SGPRBlocks: 4
; VGPRBlocks: 8
; NumSGPRsForWavesPerEU: 39
; NumVGPRsForWavesPerEU: 65
; Occupancy: 12
; WaveLimiterHint : 1
; COMPUTE_PGM_RSRC2:SCRATCH_EN: 0
; COMPUTE_PGM_RSRC2:USER_SGPR: 6
; COMPUTE_PGM_RSRC2:TRAP_HANDLER: 0
; COMPUTE_PGM_RSRC2:TGID_X_EN: 1
; COMPUTE_PGM_RSRC2:TGID_Y_EN: 0
; COMPUTE_PGM_RSRC2:TGID_Z_EN: 0
; COMPUTE_PGM_RSRC2:TIDIG_COMP_CNT: 0
	.text
	.p2alignl 6, 3214868480
	.fill 48, 4, 3214868480
	.type	__hip_cuid_b86d994868a0a679,@object ; @__hip_cuid_b86d994868a0a679
	.section	.bss,"aw",@nobits
	.globl	__hip_cuid_b86d994868a0a679
__hip_cuid_b86d994868a0a679:
	.byte	0                               ; 0x0
	.size	__hip_cuid_b86d994868a0a679, 1

	.ident	"AMD clang version 19.0.0git (https://github.com/RadeonOpenCompute/llvm-project roc-6.4.0 25133 c7fe45cf4b819c5991fe208aaa96edf142730f1d)"
	.section	".note.GNU-stack","",@progbits
	.addrsig
	.addrsig_sym __hip_cuid_b86d994868a0a679
	.amdgpu_metadata
---
amdhsa.kernels:
  - .args:
      - .actual_access:  read_only
        .address_space:  global
        .offset:         0
        .size:           8
        .value_kind:     global_buffer
      - .offset:         8
        .size:           8
        .value_kind:     by_value
      - .actual_access:  read_only
        .address_space:  global
        .offset:         16
        .size:           8
        .value_kind:     global_buffer
      - .actual_access:  read_only
        .address_space:  global
        .offset:         24
        .size:           8
        .value_kind:     global_buffer
      - .actual_access:  read_only
        .address_space:  global
        .offset:         32
        .size:           8
        .value_kind:     global_buffer
      - .offset:         40
        .size:           8
        .value_kind:     by_value
      - .actual_access:  read_only
        .address_space:  global
        .offset:         48
        .size:           8
        .value_kind:     global_buffer
      - .actual_access:  read_only
        .address_space:  global
        .offset:         56
        .size:           8
        .value_kind:     global_buffer
      - .offset:         64
        .size:           4
        .value_kind:     by_value
      - .actual_access:  read_only
        .address_space:  global
        .offset:         72
        .size:           8
        .value_kind:     global_buffer
      - .actual_access:  read_only
        .address_space:  global
        .offset:         80
        .size:           8
        .value_kind:     global_buffer
      - .actual_access:  read_only
        .address_space:  global
        .offset:         88
        .size:           8
        .value_kind:     global_buffer
      - .actual_access:  write_only
        .address_space:  global
        .offset:         96
        .size:           8
        .value_kind:     global_buffer
    .group_segment_fixed_size: 0
    .kernarg_segment_align: 8
    .kernarg_segment_size: 104
    .language:       OpenCL C
    .language_version:
      - 2
      - 0
    .max_flat_workgroup_size: 245
    .name:           fft_rtc_fwd_len343_factors_7_7_7_wgs_245_tpt_49_dp_op_CI_CI_sbrc_erc_z_xy_aligned_dirReg
    .private_segment_fixed_size: 0
    .sgpr_count:     39
    .sgpr_spill_count: 0
    .symbol:         fft_rtc_fwd_len343_factors_7_7_7_wgs_245_tpt_49_dp_op_CI_CI_sbrc_erc_z_xy_aligned_dirReg.kd
    .uniform_work_group_size: 1
    .uses_dynamic_stack: false
    .vgpr_count:     65
    .vgpr_spill_count: 0
    .wavefront_size: 32
    .workgroup_processor_mode: 1
amdhsa.target:   amdgcn-amd-amdhsa--gfx1030
amdhsa.version:
  - 1
  - 2
...

	.end_amdgpu_metadata
